;; amdgpu-corpus repo=ROCm/rocFFT kind=compiled arch=gfx906 opt=O3
	.text
	.amdgcn_target "amdgcn-amd-amdhsa--gfx906"
	.amdhsa_code_object_version 6
	.protected	fft_rtc_fwd_len504_factors_7_9_4_2_wgs_63_tpt_63_dp_op_CI_CI_unitstride_sbrr_C2R_dirReg ; -- Begin function fft_rtc_fwd_len504_factors_7_9_4_2_wgs_63_tpt_63_dp_op_CI_CI_unitstride_sbrr_C2R_dirReg
	.globl	fft_rtc_fwd_len504_factors_7_9_4_2_wgs_63_tpt_63_dp_op_CI_CI_unitstride_sbrr_C2R_dirReg
	.p2align	8
	.type	fft_rtc_fwd_len504_factors_7_9_4_2_wgs_63_tpt_63_dp_op_CI_CI_unitstride_sbrr_C2R_dirReg,@function
fft_rtc_fwd_len504_factors_7_9_4_2_wgs_63_tpt_63_dp_op_CI_CI_unitstride_sbrr_C2R_dirReg: ; @fft_rtc_fwd_len504_factors_7_9_4_2_wgs_63_tpt_63_dp_op_CI_CI_unitstride_sbrr_C2R_dirReg
; %bb.0:
	s_load_dwordx4 s[8:11], s[4:5], 0x58
	s_load_dwordx4 s[12:15], s[4:5], 0x0
	;; [unrolled: 1-line block ×3, first 2 shown]
	v_mul_u32_u24_e32 v1, 0x411, v0
	v_add_u32_sdwa v5, s6, v1 dst_sel:DWORD dst_unused:UNUSED_PAD src0_sel:DWORD src1_sel:WORD_1
	v_mov_b32_e32 v3, 0
	s_waitcnt lgkmcnt(0)
	v_cmp_lt_u64_e64 s[0:1], s[14:15], 2
	v_mov_b32_e32 v1, 0
	v_mov_b32_e32 v6, v3
	s_and_b64 vcc, exec, s[0:1]
	v_mov_b32_e32 v2, 0
	s_cbranch_vccnz .LBB0_8
; %bb.1:
	s_load_dwordx2 s[0:1], s[4:5], 0x10
	s_add_u32 s2, s18, 8
	s_addc_u32 s3, s19, 0
	s_add_u32 s6, s16, 8
	v_mov_b32_e32 v1, 0
	s_addc_u32 s7, s17, 0
	v_mov_b32_e32 v2, 0
	s_waitcnt lgkmcnt(0)
	s_add_u32 s20, s0, 8
	v_mov_b32_e32 v37, v2
	s_addc_u32 s21, s1, 0
	s_mov_b64 s[22:23], 1
	v_mov_b32_e32 v36, v1
.LBB0_2:                                ; =>This Inner Loop Header: Depth=1
	s_load_dwordx2 s[24:25], s[20:21], 0x0
                                        ; implicit-def: $vgpr38_vgpr39
	s_waitcnt lgkmcnt(0)
	v_or_b32_e32 v4, s25, v6
	v_cmp_ne_u64_e32 vcc, 0, v[3:4]
	s_and_saveexec_b64 s[0:1], vcc
	s_xor_b64 s[26:27], exec, s[0:1]
	s_cbranch_execz .LBB0_4
; %bb.3:                                ;   in Loop: Header=BB0_2 Depth=1
	v_cvt_f32_u32_e32 v4, s24
	v_cvt_f32_u32_e32 v7, s25
	s_sub_u32 s0, 0, s24
	s_subb_u32 s1, 0, s25
	v_mac_f32_e32 v4, 0x4f800000, v7
	v_rcp_f32_e32 v4, v4
	v_mul_f32_e32 v4, 0x5f7ffffc, v4
	v_mul_f32_e32 v7, 0x2f800000, v4
	v_trunc_f32_e32 v7, v7
	v_mac_f32_e32 v4, 0xcf800000, v7
	v_cvt_u32_f32_e32 v7, v7
	v_cvt_u32_f32_e32 v4, v4
	v_mul_lo_u32 v8, s0, v7
	v_mul_hi_u32 v9, s0, v4
	v_mul_lo_u32 v11, s1, v4
	v_mul_lo_u32 v10, s0, v4
	v_add_u32_e32 v8, v9, v8
	v_add_u32_e32 v8, v8, v11
	v_mul_hi_u32 v9, v4, v10
	v_mul_lo_u32 v11, v4, v8
	v_mul_hi_u32 v13, v4, v8
	v_mul_hi_u32 v12, v7, v10
	v_mul_lo_u32 v10, v7, v10
	v_mul_hi_u32 v14, v7, v8
	v_add_co_u32_e32 v9, vcc, v9, v11
	v_addc_co_u32_e32 v11, vcc, 0, v13, vcc
	v_mul_lo_u32 v8, v7, v8
	v_add_co_u32_e32 v9, vcc, v9, v10
	v_addc_co_u32_e32 v9, vcc, v11, v12, vcc
	v_addc_co_u32_e32 v10, vcc, 0, v14, vcc
	v_add_co_u32_e32 v8, vcc, v9, v8
	v_addc_co_u32_e32 v9, vcc, 0, v10, vcc
	v_add_co_u32_e32 v4, vcc, v4, v8
	v_addc_co_u32_e32 v7, vcc, v7, v9, vcc
	v_mul_lo_u32 v8, s0, v7
	v_mul_hi_u32 v9, s0, v4
	v_mul_lo_u32 v10, s1, v4
	v_mul_lo_u32 v11, s0, v4
	v_add_u32_e32 v8, v9, v8
	v_add_u32_e32 v8, v8, v10
	v_mul_lo_u32 v12, v4, v8
	v_mul_hi_u32 v13, v4, v11
	v_mul_hi_u32 v14, v4, v8
	v_mul_hi_u32 v10, v7, v11
	v_mul_lo_u32 v11, v7, v11
	v_mul_hi_u32 v9, v7, v8
	v_add_co_u32_e32 v12, vcc, v13, v12
	v_addc_co_u32_e32 v13, vcc, 0, v14, vcc
	v_mul_lo_u32 v8, v7, v8
	v_add_co_u32_e32 v11, vcc, v12, v11
	v_addc_co_u32_e32 v10, vcc, v13, v10, vcc
	v_addc_co_u32_e32 v9, vcc, 0, v9, vcc
	v_add_co_u32_e32 v8, vcc, v10, v8
	v_addc_co_u32_e32 v9, vcc, 0, v9, vcc
	v_add_co_u32_e32 v4, vcc, v4, v8
	v_addc_co_u32_e32 v9, vcc, v7, v9, vcc
	v_mad_u64_u32 v[7:8], s[0:1], v5, v9, 0
	v_mul_hi_u32 v10, v5, v4
	v_add_co_u32_e32 v11, vcc, v10, v7
	v_addc_co_u32_e32 v12, vcc, 0, v8, vcc
	v_mad_u64_u32 v[7:8], s[0:1], v6, v4, 0
	v_mad_u64_u32 v[9:10], s[0:1], v6, v9, 0
	v_add_co_u32_e32 v4, vcc, v11, v7
	v_addc_co_u32_e32 v4, vcc, v12, v8, vcc
	v_addc_co_u32_e32 v7, vcc, 0, v10, vcc
	v_add_co_u32_e32 v4, vcc, v4, v9
	v_addc_co_u32_e32 v9, vcc, 0, v7, vcc
	v_mul_lo_u32 v10, s25, v4
	v_mul_lo_u32 v11, s24, v9
	v_mad_u64_u32 v[7:8], s[0:1], s24, v4, 0
	v_add3_u32 v8, v8, v11, v10
	v_sub_u32_e32 v10, v6, v8
	v_mov_b32_e32 v11, s25
	v_sub_co_u32_e32 v7, vcc, v5, v7
	v_subb_co_u32_e64 v10, s[0:1], v10, v11, vcc
	v_subrev_co_u32_e64 v11, s[0:1], s24, v7
	v_subbrev_co_u32_e64 v10, s[0:1], 0, v10, s[0:1]
	v_cmp_le_u32_e64 s[0:1], s25, v10
	v_cndmask_b32_e64 v12, 0, -1, s[0:1]
	v_cmp_le_u32_e64 s[0:1], s24, v11
	v_cndmask_b32_e64 v11, 0, -1, s[0:1]
	v_cmp_eq_u32_e64 s[0:1], s25, v10
	v_cndmask_b32_e64 v10, v12, v11, s[0:1]
	v_add_co_u32_e64 v11, s[0:1], 2, v4
	v_addc_co_u32_e64 v12, s[0:1], 0, v9, s[0:1]
	v_add_co_u32_e64 v13, s[0:1], 1, v4
	v_addc_co_u32_e64 v14, s[0:1], 0, v9, s[0:1]
	v_subb_co_u32_e32 v8, vcc, v6, v8, vcc
	v_cmp_ne_u32_e64 s[0:1], 0, v10
	v_cmp_le_u32_e32 vcc, s25, v8
	v_cndmask_b32_e64 v10, v14, v12, s[0:1]
	v_cndmask_b32_e64 v12, 0, -1, vcc
	v_cmp_le_u32_e32 vcc, s24, v7
	v_cndmask_b32_e64 v7, 0, -1, vcc
	v_cmp_eq_u32_e32 vcc, s25, v8
	v_cndmask_b32_e32 v7, v12, v7, vcc
	v_cmp_ne_u32_e32 vcc, 0, v7
	v_cndmask_b32_e64 v7, v13, v11, s[0:1]
	v_cndmask_b32_e32 v39, v9, v10, vcc
	v_cndmask_b32_e32 v38, v4, v7, vcc
.LBB0_4:                                ;   in Loop: Header=BB0_2 Depth=1
	s_andn2_saveexec_b64 s[0:1], s[26:27]
	s_cbranch_execz .LBB0_6
; %bb.5:                                ;   in Loop: Header=BB0_2 Depth=1
	v_cvt_f32_u32_e32 v4, s24
	s_sub_i32 s26, 0, s24
	v_mov_b32_e32 v39, v3
	v_rcp_iflag_f32_e32 v4, v4
	v_mul_f32_e32 v4, 0x4f7ffffe, v4
	v_cvt_u32_f32_e32 v4, v4
	v_mul_lo_u32 v7, s26, v4
	v_mul_hi_u32 v7, v4, v7
	v_add_u32_e32 v4, v4, v7
	v_mul_hi_u32 v4, v5, v4
	v_mul_lo_u32 v7, v4, s24
	v_add_u32_e32 v8, 1, v4
	v_sub_u32_e32 v7, v5, v7
	v_subrev_u32_e32 v9, s24, v7
	v_cmp_le_u32_e32 vcc, s24, v7
	v_cndmask_b32_e32 v7, v7, v9, vcc
	v_cndmask_b32_e32 v4, v4, v8, vcc
	v_add_u32_e32 v8, 1, v4
	v_cmp_le_u32_e32 vcc, s24, v7
	v_cndmask_b32_e32 v38, v4, v8, vcc
.LBB0_6:                                ;   in Loop: Header=BB0_2 Depth=1
	s_or_b64 exec, exec, s[0:1]
	v_mul_lo_u32 v4, v39, s24
	v_mul_lo_u32 v9, v38, s25
	v_mad_u64_u32 v[7:8], s[0:1], v38, s24, 0
	s_load_dwordx2 s[0:1], s[6:7], 0x0
	s_load_dwordx2 s[24:25], s[2:3], 0x0
	v_add3_u32 v4, v8, v9, v4
	v_sub_co_u32_e32 v5, vcc, v5, v7
	v_subb_co_u32_e32 v4, vcc, v6, v4, vcc
	s_waitcnt lgkmcnt(0)
	v_mul_lo_u32 v6, s0, v4
	v_mul_lo_u32 v7, s1, v5
	v_mad_u64_u32 v[1:2], s[0:1], s0, v5, v[1:2]
	v_mul_lo_u32 v4, s24, v4
	v_mul_lo_u32 v8, s25, v5
	v_mad_u64_u32 v[36:37], s[0:1], s24, v5, v[36:37]
	s_add_u32 s22, s22, 1
	s_addc_u32 s23, s23, 0
	s_add_u32 s2, s2, 8
	v_add3_u32 v37, v8, v37, v4
	s_addc_u32 s3, s3, 0
	v_mov_b32_e32 v4, s14
	s_add_u32 s6, s6, 8
	v_mov_b32_e32 v5, s15
	s_addc_u32 s7, s7, 0
	v_cmp_ge_u64_e32 vcc, s[22:23], v[4:5]
	s_add_u32 s20, s20, 8
	v_add3_u32 v2, v7, v2, v6
	s_addc_u32 s21, s21, 0
	s_cbranch_vccnz .LBB0_9
; %bb.7:                                ;   in Loop: Header=BB0_2 Depth=1
	v_mov_b32_e32 v5, v38
	v_mov_b32_e32 v6, v39
	s_branch .LBB0_2
.LBB0_8:
	v_mov_b32_e32 v37, v2
	v_mov_b32_e32 v39, v6
	;; [unrolled: 1-line block ×4, first 2 shown]
.LBB0_9:
	s_load_dwordx2 s[4:5], s[4:5], 0x28
	s_lshl_b64 s[6:7], s[14:15], 3
	s_add_u32 s2, s18, s6
	s_addc_u32 s3, s19, s7
                                        ; implicit-def: $vgpr40
                                        ; implicit-def: $vgpr4_vgpr5
	s_waitcnt lgkmcnt(0)
	v_cmp_gt_u64_e64 s[0:1], s[4:5], v[38:39]
	v_cmp_le_u64_e32 vcc, s[4:5], v[38:39]
	s_and_saveexec_b64 s[4:5], vcc
	s_xor_b64 s[4:5], exec, s[4:5]
; %bb.10:
	s_mov_b32 s14, 0x4104105
	v_mul_hi_u32 v1, v0, s14
	v_mov_b32_e32 v41, 0
	v_mul_u32_u24_e32 v1, 63, v1
	v_sub_u32_e32 v40, v0, v1
	v_mov_b32_e32 v4, v40
	v_mov_b32_e32 v5, v41
                                        ; implicit-def: $vgpr0
                                        ; implicit-def: $vgpr1_vgpr2
; %bb.11:
	s_or_saveexec_b64 s[4:5], s[4:5]
	s_load_dwordx2 s[2:3], s[2:3], 0x0
	s_xor_b64 exec, exec, s[4:5]
	s_cbranch_execz .LBB0_15
; %bb.12:
	s_add_u32 s6, s16, s6
	s_addc_u32 s7, s17, s7
	s_load_dwordx2 s[6:7], s[6:7], 0x0
	s_mov_b32 s14, 0x4104105
	v_mul_hi_u32 v5, v0, s14
	v_lshlrev_b64 v[1:2], 4, v[1:2]
	s_waitcnt lgkmcnt(0)
	v_mul_lo_u32 v6, s7, v38
	v_mul_lo_u32 v7, s6, v39
	v_mad_u64_u32 v[3:4], s[6:7], s6, v38, 0
	v_mul_u32_u24_e32 v5, 63, v5
	v_sub_u32_e32 v40, v0, v5
	v_add3_u32 v4, v4, v7, v6
	v_lshlrev_b64 v[3:4], 4, v[3:4]
	v_mov_b32_e32 v0, s9
	v_add_co_u32_e32 v3, vcc, s8, v3
	v_addc_co_u32_e32 v0, vcc, v0, v4, vcc
	v_add_co_u32_e32 v1, vcc, v3, v1
	v_addc_co_u32_e32 v0, vcc, v0, v2, vcc
	v_lshlrev_b32_e32 v43, 4, v40
	v_add_co_u32_e32 v34, vcc, v1, v43
	v_addc_co_u32_e32 v35, vcc, 0, v0, vcc
	v_add_co_u32_e32 v41, vcc, 0x1000, v34
	global_load_dwordx4 v[2:5], v[34:35], off
	global_load_dwordx4 v[6:9], v[34:35], off offset:1008
	global_load_dwordx4 v[10:13], v[34:35], off offset:2016
	;; [unrolled: 1-line block ×3, first 2 shown]
	v_addc_co_u32_e32 v42, vcc, 0, v35, vcc
	global_load_dwordx4 v[18:21], v[34:35], off offset:4032
	global_load_dwordx4 v[22:25], v[41:42], off offset:944
	;; [unrolled: 1-line block ×4, first 2 shown]
	v_add_u32_e32 v34, 0, v43
	v_mov_b32_e32 v41, 0
	v_cmp_eq_u32_e32 vcc, 62, v40
	s_waitcnt vmcnt(7)
	ds_write_b128 v34, v[2:5]
	s_waitcnt vmcnt(6)
	ds_write_b128 v34, v[6:9] offset:1008
	s_waitcnt vmcnt(5)
	ds_write_b128 v34, v[10:13] offset:2016
	;; [unrolled: 2-line block ×7, first 2 shown]
	v_mov_b32_e32 v4, v40
	v_mov_b32_e32 v5, v41
	s_and_saveexec_b64 s[6:7], vcc
	s_cbranch_execz .LBB0_14
; %bb.13:
	v_add_co_u32_e32 v1, vcc, 0x1000, v1
	v_addc_co_u32_e32 v2, vcc, 0, v0, vcc
	global_load_dwordx4 v[0:3], v[1:2], off offset:3968
	v_mov_b32_e32 v4, 62
	v_mov_b32_e32 v5, 0
	;; [unrolled: 1-line block ×3, first 2 shown]
	s_waitcnt vmcnt(0)
	ds_write_b128 v41, v[0:3] offset:8064
.LBB0_14:
	s_or_b64 exec, exec, s[6:7]
.LBB0_15:
	s_or_b64 exec, exec, s[4:5]
	v_lshlrev_b32_e32 v0, 4, v40
	v_add_u32_e32 v94, 0, v0
	s_waitcnt lgkmcnt(0)
	; wave barrier
	s_waitcnt lgkmcnt(0)
	v_sub_u32_e32 v10, 0, v0
	ds_read_b64 v[6:7], v94
	ds_read_b64 v[8:9], v10 offset:8064
	s_add_u32 s6, s12, 0x1f10
	v_lshlrev_b64 v[42:43], 4, v[4:5]
	s_addc_u32 s7, s13, 0
	v_cmp_ne_u32_e32 vcc, 0, v40
	s_waitcnt lgkmcnt(0)
	v_add_f64 v[0:1], v[6:7], v[8:9]
	v_add_f64 v[2:3], v[6:7], -v[8:9]
	s_and_saveexec_b64 s[4:5], vcc
	s_xor_b64 s[4:5], exec, s[4:5]
	s_cbranch_execz .LBB0_17
; %bb.16:
	v_mov_b32_e32 v1, s7
	v_add_co_u32_e32 v0, vcc, s6, v42
	v_addc_co_u32_e32 v1, vcc, v1, v43, vcc
	global_load_dwordx4 v[2:5], v[0:1], off
	ds_read_b64 v[0:1], v10 offset:8072
	ds_read_b64 v[11:12], v94 offset:8
	v_add_f64 v[13:14], v[6:7], v[8:9]
	v_add_f64 v[8:9], v[6:7], -v[8:9]
	s_waitcnt lgkmcnt(0)
	v_add_f64 v[15:16], v[0:1], v[11:12]
	v_add_f64 v[0:1], v[11:12], -v[0:1]
	s_waitcnt vmcnt(0)
	v_fma_f64 v[6:7], -v[8:9], v[4:5], v[13:14]
	v_fma_f64 v[11:12], v[15:16], v[4:5], -v[0:1]
	v_fma_f64 v[13:14], v[8:9], v[4:5], v[13:14]
	v_fma_f64 v[17:18], v[15:16], v[4:5], v[0:1]
	;; [unrolled: 1-line block ×4, first 2 shown]
	v_fma_f64 v[0:1], -v[15:16], v[2:3], v[13:14]
	v_fma_f64 v[2:3], v[8:9], v[2:3], v[17:18]
	ds_write_b128 v10, v[4:7] offset:8064
.LBB0_17:
	s_andn2_saveexec_b64 s[4:5], s[4:5]
	s_cbranch_execz .LBB0_19
; %bb.18:
	v_mov_b32_e32 v8, 0
	ds_read_b128 v[4:7], v8 offset:4032
	s_waitcnt lgkmcnt(0)
	v_add_f64 v[4:5], v[4:5], v[4:5]
	v_mul_f64 v[6:7], v[6:7], -2.0
	ds_write_b128 v8, v[4:7] offset:4032
.LBB0_19:
	s_or_b64 exec, exec, s[4:5]
	v_mov_b32_e32 v41, 0
	v_lshlrev_b64 v[44:45], 4, v[40:41]
	v_mov_b32_e32 v4, s7
	v_add_co_u32_e32 v8, vcc, s6, v44
	v_addc_co_u32_e32 v9, vcc, v4, v45, vcc
	global_load_dwordx4 v[4:7], v[8:9], off offset:1008
	global_load_dwordx4 v[11:14], v[8:9], off offset:2016
	ds_write_b128 v94, v[0:3]
	ds_read_b128 v[15:18], v94 offset:1008
	ds_read_b128 v[19:22], v10 offset:7056
	global_load_dwordx4 v[0:3], v[8:9], off offset:3024
	s_mov_b32 s6, 0xe976ee23
	s_mov_b32 s4, 0x429ad128
	;; [unrolled: 1-line block ×3, first 2 shown]
	s_waitcnt lgkmcnt(0)
	v_add_f64 v[8:9], v[15:16], v[19:20]
	v_add_f64 v[23:24], v[21:22], v[17:18]
	v_add_f64 v[19:20], v[15:16], -v[19:20]
	v_add_f64 v[15:16], v[17:18], -v[21:22]
	s_mov_b32 s16, 0x36b3c0b5
	s_mov_b32 s26, 0x37e14327
	;; [unrolled: 1-line block ×17, first 2 shown]
	v_cmp_gt_u32_e32 vcc, 9, v40
	s_waitcnt vmcnt(2)
	v_fma_f64 v[17:18], v[19:20], v[6:7], v[8:9]
	v_fma_f64 v[21:22], v[23:24], v[6:7], v[15:16]
	v_fma_f64 v[25:26], -v[19:20], v[6:7], v[8:9]
	v_fma_f64 v[27:28], v[23:24], v[6:7], -v[15:16]
	v_fma_f64 v[6:7], -v[23:24], v[4:5], v[17:18]
	v_fma_f64 v[8:9], v[19:20], v[4:5], v[21:22]
	v_fma_f64 v[15:16], v[23:24], v[4:5], v[25:26]
	;; [unrolled: 1-line block ×3, first 2 shown]
	ds_write_b128 v94, v[6:9] offset:1008
	ds_write_b128 v10, v[15:18] offset:7056
	ds_read_b128 v[4:7], v94 offset:2016
	ds_read_b128 v[15:18], v10 offset:6048
	s_waitcnt lgkmcnt(0)
	v_add_f64 v[8:9], v[4:5], v[15:16]
	v_add_f64 v[19:20], v[17:18], v[6:7]
	v_add_f64 v[15:16], v[4:5], -v[15:16]
	v_add_f64 v[4:5], v[6:7], -v[17:18]
	s_waitcnt vmcnt(1)
	v_fma_f64 v[6:7], v[15:16], v[13:14], v[8:9]
	v_fma_f64 v[17:18], v[19:20], v[13:14], v[4:5]
	v_fma_f64 v[8:9], -v[15:16], v[13:14], v[8:9]
	v_fma_f64 v[21:22], v[19:20], v[13:14], -v[4:5]
	v_fma_f64 v[4:5], -v[19:20], v[11:12], v[6:7]
	v_fma_f64 v[6:7], v[15:16], v[11:12], v[17:18]
	v_fma_f64 v[13:14], v[19:20], v[11:12], v[8:9]
	;; [unrolled: 1-line block ×3, first 2 shown]
	ds_write_b128 v94, v[4:7] offset:2016
	ds_write_b128 v10, v[13:16] offset:6048
	ds_read_b128 v[4:7], v94 offset:3024
	ds_read_b128 v[11:14], v10 offset:5040
	s_waitcnt lgkmcnt(0)
	v_add_f64 v[8:9], v[4:5], v[11:12]
	v_add_f64 v[15:16], v[13:14], v[6:7]
	v_add_f64 v[11:12], v[4:5], -v[11:12]
	v_add_f64 v[4:5], v[6:7], -v[13:14]
	s_waitcnt vmcnt(0)
	v_fma_f64 v[6:7], v[11:12], v[2:3], v[8:9]
	v_fma_f64 v[13:14], v[15:16], v[2:3], v[4:5]
	v_fma_f64 v[8:9], -v[11:12], v[2:3], v[8:9]
	v_fma_f64 v[17:18], v[15:16], v[2:3], -v[4:5]
	v_fma_f64 v[2:3], -v[15:16], v[0:1], v[6:7]
	v_fma_f64 v[4:5], v[11:12], v[0:1], v[13:14]
	v_fma_f64 v[6:7], v[15:16], v[0:1], v[8:9]
	;; [unrolled: 1-line block ×3, first 2 shown]
	ds_write_b128 v94, v[2:5] offset:3024
	ds_write_b128 v10, v[6:9] offset:5040
	s_waitcnt lgkmcnt(0)
	; wave barrier
	s_waitcnt lgkmcnt(0)
	s_waitcnt lgkmcnt(0)
	; wave barrier
	s_waitcnt lgkmcnt(0)
	ds_read_b128 v[0:3], v94 offset:1152
	ds_read_b128 v[4:7], v94 offset:2160
	;; [unrolled: 1-line block ×12, first 2 shown]
	ds_read_b128 v[80:83], v94
	ds_read_b128 v[84:87], v94 offset:1008
	s_waitcnt lgkmcnt(11)
	v_add_f64 v[70:71], v[0:1], v[8:9]
	v_add_f64 v[72:73], v[2:3], v[10:11]
	v_add_f64 v[0:1], v[0:1], -v[8:9]
	v_add_f64 v[2:3], v[2:3], -v[10:11]
	s_waitcnt lgkmcnt(7)
	v_add_f64 v[8:9], v[16:17], v[24:25]
	v_add_f64 v[10:11], v[18:19], v[26:27]
	v_add_f64 v[16:17], v[16:17], -v[24:25]
	s_waitcnt lgkmcnt(3)
	v_add_f64 v[24:25], v[32:33], v[46:47]
	v_add_f64 v[32:33], v[46:47], -v[32:33]
	v_add_f64 v[46:47], v[4:5], v[12:13]
	v_add_f64 v[54:55], v[6:7], v[14:15]
	;; [unrolled: 1-line block ×4, first 2 shown]
	v_add_f64 v[18:19], v[18:19], -v[26:27]
	v_add_f64 v[26:27], v[34:35], v[48:49]
	v_add_f64 v[34:35], v[48:49], -v[34:35]
	v_add_f64 v[58:59], v[4:5], -v[12:13]
	;; [unrolled: 1-line block ×3, first 2 shown]
	s_waitcnt lgkmcnt(2)
	v_add_f64 v[4:5], v[62:63], v[66:67]
	v_add_f64 v[6:7], v[64:65], v[68:69]
	v_add_f64 v[60:61], v[20:21], -v[28:29]
	v_add_f64 v[52:53], v[22:23], -v[30:31]
	;; [unrolled: 1-line block ×4, first 2 shown]
	v_add_f64 v[20:21], v[8:9], v[70:71]
	v_add_f64 v[22:23], v[10:11], v[72:73]
	v_add_f64 v[28:29], v[50:51], v[46:47]
	v_add_f64 v[30:31], v[56:57], v[54:55]
	v_add_f64 v[74:75], v[8:9], -v[70:71]
	v_add_f64 v[8:9], v[24:25], -v[8:9]
	v_add_f64 v[64:65], v[32:33], v[16:17]
	v_add_f64 v[66:67], v[70:71], -v[24:25]
	v_add_f64 v[92:93], v[10:11], -v[72:73]
	;; [unrolled: 1-line block ×6, first 2 shown]
	v_add_f64 v[88:89], v[34:35], v[18:19]
	v_add_f64 v[90:91], v[34:35], -v[18:19]
	v_add_f64 v[18:19], v[18:19], -v[2:3]
	;; [unrolled: 1-line block ×6, first 2 shown]
	v_add_f64 v[99:100], v[12:13], v[60:61]
	v_add_f64 v[70:71], v[12:13], -v[60:61]
	v_add_f64 v[12:13], v[58:59], -v[12:13]
	;; [unrolled: 1-line block ×3, first 2 shown]
	v_add_f64 v[20:21], v[24:25], v[20:21]
	v_add_f64 v[22:23], v[26:27], v[22:23]
	;; [unrolled: 1-line block ×4, first 2 shown]
	v_add_f64 v[32:33], v[0:1], -v[32:33]
	v_add_f64 v[34:35], v[2:3], -v[34:35]
	v_add_f64 v[101:102], v[14:15], v[52:53]
	v_add_f64 v[72:73], v[14:15], -v[52:53]
	v_add_f64 v[24:25], v[64:65], v[0:1]
	v_add_f64 v[26:27], v[88:89], v[2:3]
	v_mul_f64 v[28:29], v[78:79], s[6:7]
	v_mul_f64 v[30:31], v[16:17], s[4:5]
	;; [unrolled: 1-line block ×12, first 2 shown]
	s_waitcnt lgkmcnt(1)
	v_add_f64 v[0:1], v[80:81], v[20:21]
	v_add_f64 v[2:3], v[82:83], v[22:23]
	s_waitcnt lgkmcnt(0)
	v_add_f64 v[12:13], v[84:85], v[4:5]
	v_add_f64 v[14:15], v[86:87], v[6:7]
	;; [unrolled: 1-line block ×4, first 2 shown]
	v_fma_f64 v[16:17], v[16:17], s[4:5], -v[28:29]
	v_fma_f64 v[30:31], v[32:33], s[22:23], -v[30:31]
	v_fma_f64 v[28:29], v[32:33], s[20:21], v[28:29]
	v_fma_f64 v[18:19], v[18:19], s[4:5], -v[105:106]
	v_fma_f64 v[32:33], v[34:35], s[22:23], -v[107:108]
	v_fma_f64 v[34:35], v[34:35], s[20:21], v[105:106]
	;; [unrolled: 3-line block ×4, first 2 shown]
	v_fma_f64 v[97:98], v[62:63], s[16:17], v[64:65]
	v_fma_f64 v[99:100], v[68:69], s[16:17], v[76:77]
	;; [unrolled: 1-line block ×15, first 2 shown]
	v_add_f64 v[4:5], v[80:81], v[20:21]
	v_add_f64 v[6:7], v[95:96], v[22:23]
	;; [unrolled: 1-line block ×8, first 2 shown]
	v_fma_f64 v[92:93], v[88:89], s[18:19], v[101:102]
	v_add_f64 v[16:17], v[4:5], -v[24:25]
	v_add_f64 v[18:19], v[103:104], v[6:7]
	v_add_f64 v[20:21], v[4:5], v[24:25]
	v_add_f64 v[22:23], v[6:7], -v[103:104]
	v_add_f64 v[8:9], v[26:27], v[28:29]
	v_add_f64 v[10:11], v[34:35], -v[30:31]
	v_add_f64 v[24:25], v[26:27], -v[28:29]
	v_add_f64 v[26:27], v[30:31], v[34:35]
	v_add_f64 v[4:5], v[95:96], v[32:33]
	v_add_f64 v[6:7], v[107:108], -v[105:106]
	v_add_f64 v[28:29], v[95:96], -v[32:33]
	v_add_f64 v[30:31], v[105:106], v[107:108]
	v_add_f64 v[32:33], v[80:81], v[74:75]
	v_add_f64 v[34:35], v[86:87], -v[92:93]
	s_movk_i32 s20, 0x60
	v_mad_u32_u24 v41, v40, s20, v94
	s_waitcnt lgkmcnt(0)
	; wave barrier
	ds_write_b128 v41, v[0:3]
	ds_write_b128 v41, v[4:7] offset:16
	ds_write_b128 v41, v[8:11] offset:32
	;; [unrolled: 1-line block ×6, first 2 shown]
	s_and_saveexec_b64 s[20:21], vcc
	s_cbranch_execz .LBB0_21
; %bb.20:
	v_add_f64 v[58:59], v[60:61], -v[58:59]
	v_add_f64 v[54:55], v[56:57], -v[54:55]
	v_mul_f64 v[56:57], v[70:71], s[6:7]
	v_add_f64 v[46:47], v[50:51], -v[46:47]
	v_add_f64 v[48:49], v[52:53], -v[48:49]
	v_mul_f64 v[62:63], v[62:63], s[16:17]
	v_mul_f64 v[68:69], v[68:69], s[16:17]
	;; [unrolled: 1-line block ×3, first 2 shown]
	s_mov_b32 s7, 0xbfebfeb5
	s_mov_b32 s6, s4
	v_mul_f64 v[88:89], v[88:89], s[18:19]
	v_mul_f64 v[90:91], v[90:91], s[18:19]
	v_fma_f64 v[50:51], v[58:59], s[6:7], -v[78:79]
	v_fma_f64 v[52:53], v[54:55], s[14:15], -v[76:77]
	;; [unrolled: 1-line block ×8, first 2 shown]
	v_add_f64 v[50:51], v[88:89], v[50:51]
	v_add_f64 v[62:63], v[52:53], v[84:85]
	;; [unrolled: 1-line block ×10, first 2 shown]
	v_add_f64 v[64:65], v[62:63], -v[50:51]
	v_add_f64 v[62:63], v[66:67], v[68:69]
	v_add_f64 v[56:57], v[54:55], -v[60:61]
	v_add_f64 v[60:61], v[60:61], v[54:55]
	;; [unrolled: 2-line block ×3, first 2 shown]
	v_add_f64 v[50:51], v[66:67], -v[68:69]
	v_add_f64 v[46:47], v[80:81], -v[74:75]
	ds_write_b128 v41, v[12:15] offset:7056
	ds_write_b128 v41, v[32:35] offset:7072
	;; [unrolled: 1-line block ×7, first 2 shown]
.LBB0_21:
	s_or_b64 exec, exec, s[20:21]
	v_cmp_gt_u32_e32 vcc, 56, v40
	s_waitcnt lgkmcnt(0)
	; wave barrier
	s_waitcnt lgkmcnt(0)
	s_and_saveexec_b64 s[4:5], vcc
	s_cbranch_execz .LBB0_23
; %bb.22:
	ds_read_b128 v[0:3], v94
	ds_read_b128 v[4:7], v94 offset:896
	ds_read_b128 v[8:11], v94 offset:1792
	;; [unrolled: 1-line block ×7, first 2 shown]
	s_movk_i32 s6, 0xffa0
	v_mad_i32_i24 v32, v40, s6, v41
	ds_read_b128 v[32:35], v32 offset:7168
.LBB0_23:
	s_or_b64 exec, exec, s[4:5]
	s_waitcnt lgkmcnt(0)
	; wave barrier
	s_waitcnt lgkmcnt(0)
	s_and_saveexec_b64 s[4:5], vcc
	s_cbranch_execz .LBB0_25
; %bb.24:
	v_mov_b32_e32 v41, 37
	v_mul_lo_u16_sdwa v41, v40, v41 dst_sel:DWORD dst_unused:UNUSED_PAD src0_sel:BYTE_0 src1_sel:DWORD
	v_sub_u16_sdwa v46, v40, v41 dst_sel:DWORD dst_unused:UNUSED_PAD src0_sel:DWORD src1_sel:BYTE_1
	v_lshrrev_b16_e32 v46, 1, v46
	v_and_b32_e32 v46, 0x7f, v46
	v_add_u16_sdwa v41, v46, v41 dst_sel:DWORD dst_unused:UNUSED_PAD src0_sel:DWORD src1_sel:BYTE_1
	v_lshrrev_b16_e32 v41, 2, v41
	v_mul_lo_u16_e32 v46, 7, v41
	v_sub_u16_e32 v95, v40, v46
	v_mov_b32_e32 v46, 7
	v_lshlrev_b32_sdwa v78, v46, v95 dst_sel:DWORD dst_unused:UNUSED_PAD src0_sel:DWORD src1_sel:BYTE_0
	global_load_dwordx4 v[46:49], v78, s[12:13] offset:32
	global_load_dwordx4 v[50:53], v78, s[12:13] offset:80
	;; [unrolled: 1-line block ×6, first 2 shown]
	global_load_dwordx4 v[70:73], v78, s[12:13]
	global_load_dwordx4 v[74:77], v78, s[12:13] offset:112
	s_mov_b32 s8, 0x8c811c17
	s_mov_b32 s22, 0xa2cf5039
	;; [unrolled: 1-line block ×16, first 2 shown]
	v_mul_u32_u24_e32 v41, 0x3f0, v41
	s_waitcnt vmcnt(7)
	v_mul_f64 v[78:79], v[18:19], v[48:49]
	s_waitcnt vmcnt(6)
	v_mul_f64 v[80:81], v[30:31], v[52:53]
	;; [unrolled: 2-line block ×6, first 2 shown]
	v_mul_f64 v[56:57], v[8:9], v[56:57]
	v_mul_f64 v[60:61], v[12:13], v[60:61]
	;; [unrolled: 1-line block ×4, first 2 shown]
	s_waitcnt vmcnt(1)
	v_mul_f64 v[90:91], v[6:7], v[72:73]
	s_waitcnt vmcnt(0)
	v_mul_f64 v[92:93], v[34:35], v[76:77]
	v_mul_f64 v[72:73], v[4:5], v[72:73]
	;; [unrolled: 1-line block ×5, first 2 shown]
	v_fma_f64 v[20:21], v[20:21], v[62:63], -v[86:87]
	v_fma_f64 v[24:25], v[24:25], v[66:67], -v[88:89]
	v_fma_f64 v[10:11], v[10:11], v[54:55], v[56:57]
	v_fma_f64 v[14:15], v[14:15], v[58:59], v[60:61]
	;; [unrolled: 1-line block ×4, first 2 shown]
	v_fma_f64 v[8:9], v[8:9], v[54:55], -v[82:83]
	v_fma_f64 v[12:13], v[12:13], v[58:59], -v[84:85]
	v_fma_f64 v[4:5], v[4:5], v[70:71], -v[90:91]
	v_fma_f64 v[32:33], v[32:33], v[74:75], -v[92:93]
	v_fma_f64 v[6:7], v[6:7], v[70:71], v[72:73]
	v_fma_f64 v[34:35], v[34:35], v[74:75], v[76:77]
	v_fma_f64 v[16:17], v[16:17], v[46:47], -v[78:79]
	v_fma_f64 v[28:29], v[28:29], v[50:51], -v[80:81]
	v_fma_f64 v[18:19], v[18:19], v[46:47], v[48:49]
	v_fma_f64 v[30:31], v[30:31], v[50:51], v[52:53]
	v_add_f64 v[50:51], v[20:21], -v[24:25]
	v_add_f64 v[56:57], v[10:11], v[14:15]
	v_add_f64 v[10:11], v[10:11], -v[14:15]
	v_add_f64 v[14:15], v[22:23], -v[26:27]
	;; [unrolled: 1-line block ×4, first 2 shown]
	v_add_f64 v[54:55], v[22:23], v[26:27]
	v_add_f64 v[60:61], v[6:7], v[34:35]
	;; [unrolled: 1-line block ×5, first 2 shown]
	v_add_f64 v[46:47], v[16:17], -v[28:29]
	v_add_f64 v[58:59], v[18:19], v[30:31]
	v_add_f64 v[18:19], v[18:19], -v[30:31]
	v_add_f64 v[16:17], v[16:17], v[28:29]
	v_mul_f64 v[28:29], v[50:51], s[8:9]
	v_fma_f64 v[30:31], v[56:57], s[22:23], v[2:3]
	v_mul_f64 v[32:33], v[14:15], s[8:9]
	v_add_f64 v[6:7], v[6:7], -v[34:35]
	v_add_f64 v[62:63], v[56:57], v[60:61]
	v_add_f64 v[64:65], v[8:9], v[4:5]
	v_mul_f64 v[74:75], v[50:51], s[16:17]
	v_fma_f64 v[76:77], v[54:55], s[22:23], v[2:3]
	v_mul_f64 v[78:79], v[14:15], s[16:17]
	v_fma_f64 v[80:81], v[12:13], s[22:23], v[0:1]
	v_fma_f64 v[34:35], v[8:9], s[22:23], v[0:1]
	v_fma_f64 v[28:29], v[48:49], s[16:17], -v[28:29]
	v_fma_f64 v[30:31], v[54:55], s[20:21], v[30:31]
	v_fma_f64 v[32:33], v[10:11], s[16:17], -v[32:33]
	s_mov_b32 s17, 0x3fe491b7
	v_add_f64 v[68:69], v[2:3], v[58:59]
	v_add_f64 v[72:73], v[0:1], v[16:17]
	v_fma_f64 v[82:83], v[60:61], s[22:23], v[2:3]
	v_fma_f64 v[84:85], v[4:5], s[22:23], v[0:1]
	v_add_f64 v[86:87], v[58:59], v[62:63]
	v_add_f64 v[88:89], v[16:17], v[64:65]
	;; [unrolled: 1-line block ×4, first 2 shown]
	v_fma_f64 v[74:75], v[52:53], s[8:9], v[74:75]
	v_fma_f64 v[76:77], v[60:61], s[20:21], v[76:77]
	v_fma_f64 v[78:79], v[6:7], s[8:9], v[78:79]
	v_fma_f64 v[80:81], v[4:5], s[20:21], v[80:81]
	v_mul_f64 v[90:91], v[52:53], s[16:17]
	v_mul_f64 v[92:93], v[6:7], s[16:17]
	v_fma_f64 v[34:35], v[12:13], s[20:21], v[34:35]
	v_fma_f64 v[28:29], v[46:47], s[6:7], v[28:29]
	v_fma_f64 v[30:31], v[58:59], -0.5, v[30:31]
	v_fma_f64 v[82:83], v[56:57], s[20:21], v[82:83]
	v_fma_f64 v[84:85], v[8:9], s[20:21], v[84:85]
	v_add_f64 v[22:23], v[22:23], v[86:87]
	v_fma_f64 v[62:63], v[62:63], -0.5, v[68:69]
	v_fma_f64 v[64:65], v[64:65], -0.5, v[72:73]
	v_fma_f64 v[68:69], v[46:47], s[24:25], v[74:75]
	v_fma_f64 v[72:73], v[58:59], -0.5, v[76:77]
	v_fma_f64 v[74:75], v[18:19], s[24:25], v[78:79]
	;; [unrolled: 2-line block ×3, first 2 shown]
	v_fma_f64 v[80:81], v[10:11], s[8:9], v[92:93]
	v_add_f64 v[70:71], v[14:15], v[6:7]
	v_fma_f64 v[32:33], v[18:19], s[6:7], v[32:33]
	v_fma_f64 v[34:35], v[16:17], -0.5, v[34:35]
	v_fma_f64 v[28:29], v[52:53], s[14:15], v[28:29]
	v_fma_f64 v[30:31], v[60:61], s[18:19], v[30:31]
	v_add_f64 v[66:67], v[50:51], v[52:53]
	v_add_f64 v[20:21], v[20:21], v[88:89]
	v_fma_f64 v[58:59], v[58:59], -0.5, v[82:83]
	v_fma_f64 v[16:17], v[16:17], -0.5, v[84:85]
	v_add_f64 v[26:27], v[26:27], v[22:23]
	v_fma_f64 v[22:23], v[46:47], s[6:7], v[78:79]
	v_fma_f64 v[18:19], v[18:19], s[6:7], v[80:81]
	v_add_f64 v[70:71], v[70:71], -v[10:11]
	v_fma_f64 v[32:33], v[6:7], s[14:15], v[32:33]
	v_fma_f64 v[4:5], v[4:5], s[18:19], v[34:35]
	v_add_f64 v[6:7], v[30:31], -v[28:29]
	;; [unrolled: 3-line block ×3, first 2 shown]
	v_add_f64 v[24:25], v[24:25], v[20:21]
	v_fma_f64 v[34:35], v[48:49], s[14:15], v[68:69]
	v_fma_f64 v[20:21], v[56:57], s[18:19], v[72:73]
	;; [unrolled: 1-line block ×6, first 2 shown]
	v_add_f64 v[4:5], v[32:33], v[4:5]
	v_fma_f64 v[10:11], v[28:29], 2.0, v[6:7]
	v_mul_f64 v[28:29], v[70:71], s[6:7]
	v_fma_f64 v[12:13], v[70:71], s[6:7], v[64:65]
	v_add_f64 v[16:17], v[46:47], v[30:31]
	v_mul_f64 v[86:87], v[66:67], s[6:7]
	v_fma_f64 v[14:15], v[66:67], s[24:25], v[62:63]
	v_add_f64 v[18:19], v[20:21], -v[34:35]
	v_add_f64 v[22:23], v[48:49], -v[50:51]
	v_add_f64 v[20:21], v[54:55], v[52:53]
	v_add_f64 v[2:3], v[2:3], v[26:27]
	;; [unrolled: 1-line block ×3, first 2 shown]
	v_fma_f64 v[8:9], v[32:33], -2.0, v[4:5]
	v_fma_f64 v[24:25], v[28:29], -2.0, v[12:13]
	v_fma_f64 v[28:29], v[46:47], -2.0, v[16:17]
	v_mov_b32_e32 v46, 4
	v_fma_f64 v[26:27], v[86:87], 2.0, v[14:15]
	v_lshlrev_b32_sdwa v46, v46, v95 dst_sel:DWORD dst_unused:UNUSED_PAD src0_sel:DWORD src1_sel:BYTE_0
	v_fma_f64 v[30:31], v[34:35], 2.0, v[18:19]
	v_add3_u32 v41, 0, v41, v46
	v_fma_f64 v[34:35], v[50:51], 2.0, v[22:23]
	v_fma_f64 v[32:33], v[54:55], -2.0, v[20:21]
	ds_write_b128 v41, v[0:3]
	ds_write_b128 v41, v[20:23] offset:112
	ds_write_b128 v41, v[16:19] offset:224
	;; [unrolled: 1-line block ×8, first 2 shown]
.LBB0_25:
	s_or_b64 exec, exec, s[4:5]
	v_mul_u32_u24_e32 v0, 3, v40
	v_lshlrev_b32_e32 v12, 4, v0
	s_waitcnt lgkmcnt(0)
	; wave barrier
	s_waitcnt lgkmcnt(0)
	global_load_dwordx4 v[0:3], v12, s[12:13] offset:896
	global_load_dwordx4 v[4:7], v12, s[12:13] offset:912
	;; [unrolled: 1-line block ×3, first 2 shown]
	ds_read_b128 v[12:15], v94
	ds_read_b128 v[16:19], v94 offset:1008
	ds_read_b128 v[20:23], v94 offset:2016
	ds_read_b128 v[24:27], v94 offset:3024
	ds_read_b128 v[28:31], v94 offset:4032
	ds_read_b128 v[32:35], v94 offset:5040
	ds_read_b128 v[46:49], v94 offset:6048
	ds_read_b128 v[50:53], v94 offset:7056
	v_mov_b32_e32 v54, s13
	v_add_co_u32_e32 v41, vcc, s12, v42
	v_addc_co_u32_e32 v42, vcc, v54, v43, vcc
	v_add_co_u32_e32 v70, vcc, s12, v44
	v_addc_co_u32_e32 v71, vcc, v54, v45, vcc
	s_movk_i32 s4, 0x1000
	s_waitcnt lgkmcnt(0)
	; wave barrier
	s_waitcnt vmcnt(2) lgkmcnt(0)
	v_mul_f64 v[43:44], v[22:23], v[2:3]
	v_mul_f64 v[54:55], v[20:21], v[2:3]
	s_waitcnt vmcnt(1)
	v_mul_f64 v[56:57], v[30:31], v[6:7]
	v_mul_f64 v[58:59], v[28:29], v[6:7]
	s_waitcnt vmcnt(0)
	v_mul_f64 v[60:61], v[48:49], v[10:11]
	v_mul_f64 v[62:63], v[46:47], v[10:11]
	;; [unrolled: 1-line block ×8, first 2 shown]
	v_fma_f64 v[20:21], v[20:21], v[0:1], -v[43:44]
	v_fma_f64 v[22:23], v[22:23], v[0:1], v[54:55]
	v_fma_f64 v[28:29], v[28:29], v[4:5], -v[56:57]
	v_fma_f64 v[30:31], v[30:31], v[4:5], v[58:59]
	;; [unrolled: 2-line block ×6, first 2 shown]
	v_add_f64 v[26:27], v[12:13], -v[28:29]
	v_add_f64 v[28:29], v[14:15], -v[30:31]
	;; [unrolled: 1-line block ×8, first 2 shown]
	v_fma_f64 v[43:44], v[12:13], 2.0, -v[26:27]
	v_fma_f64 v[45:46], v[14:15], 2.0, -v[28:29]
	;; [unrolled: 1-line block ×8, first 2 shown]
	v_add_f64 v[0:1], v[26:27], -v[30:31]
	v_add_f64 v[2:3], v[28:29], v[10:11]
	v_add_f64 v[4:5], v[32:33], -v[4:5]
	v_add_f64 v[6:7], v[34:35], v[6:7]
	v_add_f64 v[8:9], v[43:44], -v[8:9]
	v_add_f64 v[10:11], v[45:46], -v[12:13]
	;; [unrolled: 1-line block ×4, first 2 shown]
	v_fma_f64 v[16:17], v[26:27], 2.0, -v[0:1]
	v_fma_f64 v[18:19], v[28:29], 2.0, -v[2:3]
	v_fma_f64 v[20:21], v[32:33], 2.0, -v[4:5]
	v_fma_f64 v[22:23], v[34:35], 2.0, -v[6:7]
	v_fma_f64 v[24:25], v[43:44], 2.0, -v[8:9]
	v_fma_f64 v[26:27], v[45:46], 2.0, -v[10:11]
	v_fma_f64 v[28:29], v[47:48], 2.0, -v[12:13]
	v_fma_f64 v[30:31], v[49:50], 2.0, -v[14:15]
	ds_write_b128 v94, v[0:3] offset:3024
	ds_write_b128 v94, v[4:7] offset:7056
	;; [unrolled: 1-line block ×6, first 2 shown]
	ds_write_b128 v94, v[24:27]
	ds_write_b128 v94, v[28:31] offset:4032
	s_waitcnt lgkmcnt(0)
	; wave barrier
	s_waitcnt lgkmcnt(0)
	global_load_dwordx4 v[0:3], v[41:42], off offset:3920
	v_add_co_u32_e32 v16, vcc, s4, v70
	v_addc_co_u32_e32 v17, vcc, 0, v71, vcc
	global_load_dwordx4 v[4:7], v[16:17], off offset:832
	global_load_dwordx4 v[8:11], v[16:17], off offset:1840
	;; [unrolled: 1-line block ×3, first 2 shown]
	ds_read_b128 v[16:19], v94
	ds_read_b128 v[20:23], v94 offset:1008
	ds_read_b128 v[24:27], v94 offset:4032
	;; [unrolled: 1-line block ×7, first 2 shown]
	s_waitcnt lgkmcnt(0)
	; wave barrier
	s_waitcnt vmcnt(3) lgkmcnt(0)
	v_mul_f64 v[53:54], v[26:27], v[2:3]
	v_mul_f64 v[2:3], v[24:25], v[2:3]
	s_waitcnt vmcnt(2)
	v_mul_f64 v[55:56], v[30:31], v[6:7]
	v_mul_f64 v[6:7], v[28:29], v[6:7]
	s_waitcnt vmcnt(1)
	;; [unrolled: 3-line block ×3, first 2 shown]
	v_mul_f64 v[59:60], v[51:52], v[14:15]
	v_mul_f64 v[14:15], v[49:50], v[14:15]
	v_fma_f64 v[24:25], v[24:25], v[0:1], -v[53:54]
	v_fma_f64 v[2:3], v[26:27], v[0:1], v[2:3]
	v_fma_f64 v[26:27], v[28:29], v[4:5], -v[55:56]
	v_fma_f64 v[6:7], v[30:31], v[4:5], v[6:7]
	;; [unrolled: 2-line block ×4, first 2 shown]
	v_add_f64 v[0:1], v[16:17], -v[24:25]
	v_add_f64 v[2:3], v[18:19], -v[2:3]
	;; [unrolled: 1-line block ×8, first 2 shown]
	v_fma_f64 v[16:17], v[16:17], 2.0, -v[0:1]
	v_fma_f64 v[18:19], v[18:19], 2.0, -v[2:3]
	;; [unrolled: 1-line block ×8, first 2 shown]
	ds_write_b128 v94, v[0:3] offset:4032
	ds_write_b128 v94, v[4:7] offset:5040
	;; [unrolled: 1-line block ×4, first 2 shown]
	ds_write_b128 v94, v[16:19]
	ds_write_b128 v94, v[20:23] offset:1008
	ds_write_b128 v94, v[24:27] offset:2016
	;; [unrolled: 1-line block ×3, first 2 shown]
	s_waitcnt lgkmcnt(0)
	; wave barrier
	s_waitcnt lgkmcnt(0)
	s_and_saveexec_b64 s[4:5], s[0:1]
	s_cbranch_execz .LBB0_27
; %bb.26:
	v_mul_lo_u32 v0, s3, v38
	v_mul_lo_u32 v1, s2, v39
	v_mad_u64_u32 v[4:5], s[0:1], s2, v38, 0
	v_mov_b32_e32 v6, s11
	v_lshl_add_u32 v10, v40, 4, 0
	v_add3_u32 v5, v5, v1, v0
	v_lshlrev_b64 v[4:5], 4, v[4:5]
	v_mov_b32_e32 v41, 0
	v_add_co_u32_e32 v7, vcc, s10, v4
	v_addc_co_u32_e32 v6, vcc, v6, v5, vcc
	v_lshlrev_b64 v[4:5], 4, v[36:37]
	ds_read_b128 v[0:3], v10
	v_add_co_u32_e32 v11, vcc, v7, v4
	v_addc_co_u32_e32 v12, vcc, v6, v5, vcc
	v_lshlrev_b64 v[4:5], 4, v[40:41]
	v_add_co_u32_e32 v8, vcc, v11, v4
	v_addc_co_u32_e32 v9, vcc, v12, v5, vcc
	ds_read_b128 v[4:7], v10 offset:1008
	s_waitcnt lgkmcnt(1)
	global_store_dwordx4 v[8:9], v[0:3], off
	s_nop 0
	v_add_u32_e32 v0, 63, v40
	v_mov_b32_e32 v1, v41
	v_lshlrev_b64 v[0:1], 4, v[0:1]
	v_add_co_u32_e32 v0, vcc, v11, v0
	v_addc_co_u32_e32 v1, vcc, v12, v1, vcc
	s_waitcnt lgkmcnt(0)
	global_store_dwordx4 v[0:1], v[4:7], off
	ds_read_b128 v[0:3], v10 offset:2016
	v_add_u32_e32 v4, 0x7e, v40
	v_mov_b32_e32 v5, v41
	v_lshlrev_b64 v[4:5], 4, v[4:5]
	v_add_co_u32_e32 v8, vcc, v11, v4
	v_addc_co_u32_e32 v9, vcc, v12, v5, vcc
	ds_read_b128 v[4:7], v10 offset:3024
	s_waitcnt lgkmcnt(1)
	global_store_dwordx4 v[8:9], v[0:3], off
	s_nop 0
	v_add_u32_e32 v0, 0xbd, v40
	v_mov_b32_e32 v1, v41
	v_lshlrev_b64 v[0:1], 4, v[0:1]
	v_add_co_u32_e32 v0, vcc, v11, v0
	v_addc_co_u32_e32 v1, vcc, v12, v1, vcc
	s_waitcnt lgkmcnt(0)
	global_store_dwordx4 v[0:1], v[4:7], off
	ds_read_b128 v[0:3], v10 offset:4032
	v_add_u32_e32 v4, 0xfc, v40
	v_mov_b32_e32 v5, v41
	;; [unrolled: 17-line block ×3, first 2 shown]
	v_lshlrev_b64 v[4:5], 4, v[4:5]
	v_add_u32_e32 v40, 0x1b9, v40
	v_add_co_u32_e32 v8, vcc, v11, v4
	v_addc_co_u32_e32 v9, vcc, v12, v5, vcc
	ds_read_b128 v[4:7], v10 offset:7056
	s_waitcnt lgkmcnt(1)
	global_store_dwordx4 v[8:9], v[0:3], off
	s_nop 0
	v_lshlrev_b64 v[0:1], 4, v[40:41]
	v_add_co_u32_e32 v0, vcc, v11, v0
	v_addc_co_u32_e32 v1, vcc, v12, v1, vcc
	s_waitcnt lgkmcnt(0)
	global_store_dwordx4 v[0:1], v[4:7], off
.LBB0_27:
	s_endpgm
	.section	.rodata,"a",@progbits
	.p2align	6, 0x0
	.amdhsa_kernel fft_rtc_fwd_len504_factors_7_9_4_2_wgs_63_tpt_63_dp_op_CI_CI_unitstride_sbrr_C2R_dirReg
		.amdhsa_group_segment_fixed_size 0
		.amdhsa_private_segment_fixed_size 0
		.amdhsa_kernarg_size 104
		.amdhsa_user_sgpr_count 6
		.amdhsa_user_sgpr_private_segment_buffer 1
		.amdhsa_user_sgpr_dispatch_ptr 0
		.amdhsa_user_sgpr_queue_ptr 0
		.amdhsa_user_sgpr_kernarg_segment_ptr 1
		.amdhsa_user_sgpr_dispatch_id 0
		.amdhsa_user_sgpr_flat_scratch_init 0
		.amdhsa_user_sgpr_private_segment_size 0
		.amdhsa_uses_dynamic_stack 0
		.amdhsa_system_sgpr_private_segment_wavefront_offset 0
		.amdhsa_system_sgpr_workgroup_id_x 1
		.amdhsa_system_sgpr_workgroup_id_y 0
		.amdhsa_system_sgpr_workgroup_id_z 0
		.amdhsa_system_sgpr_workgroup_info 0
		.amdhsa_system_vgpr_workitem_id 0
		.amdhsa_next_free_vgpr 117
		.amdhsa_next_free_sgpr 28
		.amdhsa_reserve_vcc 1
		.amdhsa_reserve_flat_scratch 0
		.amdhsa_float_round_mode_32 0
		.amdhsa_float_round_mode_16_64 0
		.amdhsa_float_denorm_mode_32 3
		.amdhsa_float_denorm_mode_16_64 3
		.amdhsa_dx10_clamp 1
		.amdhsa_ieee_mode 1
		.amdhsa_fp16_overflow 0
		.amdhsa_exception_fp_ieee_invalid_op 0
		.amdhsa_exception_fp_denorm_src 0
		.amdhsa_exception_fp_ieee_div_zero 0
		.amdhsa_exception_fp_ieee_overflow 0
		.amdhsa_exception_fp_ieee_underflow 0
		.amdhsa_exception_fp_ieee_inexact 0
		.amdhsa_exception_int_div_zero 0
	.end_amdhsa_kernel
	.text
.Lfunc_end0:
	.size	fft_rtc_fwd_len504_factors_7_9_4_2_wgs_63_tpt_63_dp_op_CI_CI_unitstride_sbrr_C2R_dirReg, .Lfunc_end0-fft_rtc_fwd_len504_factors_7_9_4_2_wgs_63_tpt_63_dp_op_CI_CI_unitstride_sbrr_C2R_dirReg
                                        ; -- End function
	.section	.AMDGPU.csdata,"",@progbits
; Kernel info:
; codeLenInByte = 7252
; NumSgprs: 32
; NumVgprs: 117
; ScratchSize: 0
; MemoryBound: 0
; FloatMode: 240
; IeeeMode: 1
; LDSByteSize: 0 bytes/workgroup (compile time only)
; SGPRBlocks: 3
; VGPRBlocks: 29
; NumSGPRsForWavesPerEU: 32
; NumVGPRsForWavesPerEU: 117
; Occupancy: 2
; WaveLimiterHint : 1
; COMPUTE_PGM_RSRC2:SCRATCH_EN: 0
; COMPUTE_PGM_RSRC2:USER_SGPR: 6
; COMPUTE_PGM_RSRC2:TRAP_HANDLER: 0
; COMPUTE_PGM_RSRC2:TGID_X_EN: 1
; COMPUTE_PGM_RSRC2:TGID_Y_EN: 0
; COMPUTE_PGM_RSRC2:TGID_Z_EN: 0
; COMPUTE_PGM_RSRC2:TIDIG_COMP_CNT: 0
	.type	__hip_cuid_5d05b4687eb8d792,@object ; @__hip_cuid_5d05b4687eb8d792
	.section	.bss,"aw",@nobits
	.globl	__hip_cuid_5d05b4687eb8d792
__hip_cuid_5d05b4687eb8d792:
	.byte	0                               ; 0x0
	.size	__hip_cuid_5d05b4687eb8d792, 1

	.ident	"AMD clang version 19.0.0git (https://github.com/RadeonOpenCompute/llvm-project roc-6.4.0 25133 c7fe45cf4b819c5991fe208aaa96edf142730f1d)"
	.section	".note.GNU-stack","",@progbits
	.addrsig
	.addrsig_sym __hip_cuid_5d05b4687eb8d792
	.amdgpu_metadata
---
amdhsa.kernels:
  - .args:
      - .actual_access:  read_only
        .address_space:  global
        .offset:         0
        .size:           8
        .value_kind:     global_buffer
      - .offset:         8
        .size:           8
        .value_kind:     by_value
      - .actual_access:  read_only
        .address_space:  global
        .offset:         16
        .size:           8
        .value_kind:     global_buffer
      - .actual_access:  read_only
        .address_space:  global
        .offset:         24
        .size:           8
        .value_kind:     global_buffer
      - .actual_access:  read_only
        .address_space:  global
        .offset:         32
        .size:           8
        .value_kind:     global_buffer
      - .offset:         40
        .size:           8
        .value_kind:     by_value
      - .actual_access:  read_only
        .address_space:  global
        .offset:         48
        .size:           8
        .value_kind:     global_buffer
      - .actual_access:  read_only
        .address_space:  global
        .offset:         56
        .size:           8
        .value_kind:     global_buffer
      - .offset:         64
        .size:           4
        .value_kind:     by_value
      - .actual_access:  read_only
        .address_space:  global
        .offset:         72
        .size:           8
        .value_kind:     global_buffer
      - .actual_access:  read_only
        .address_space:  global
        .offset:         80
        .size:           8
        .value_kind:     global_buffer
      - .actual_access:  read_only
        .address_space:  global
        .offset:         88
        .size:           8
        .value_kind:     global_buffer
      - .actual_access:  write_only
        .address_space:  global
        .offset:         96
        .size:           8
        .value_kind:     global_buffer
    .group_segment_fixed_size: 0
    .kernarg_segment_align: 8
    .kernarg_segment_size: 104
    .language:       OpenCL C
    .language_version:
      - 2
      - 0
    .max_flat_workgroup_size: 63
    .name:           fft_rtc_fwd_len504_factors_7_9_4_2_wgs_63_tpt_63_dp_op_CI_CI_unitstride_sbrr_C2R_dirReg
    .private_segment_fixed_size: 0
    .sgpr_count:     32
    .sgpr_spill_count: 0
    .symbol:         fft_rtc_fwd_len504_factors_7_9_4_2_wgs_63_tpt_63_dp_op_CI_CI_unitstride_sbrr_C2R_dirReg.kd
    .uniform_work_group_size: 1
    .uses_dynamic_stack: false
    .vgpr_count:     117
    .vgpr_spill_count: 0
    .wavefront_size: 64
amdhsa.target:   amdgcn-amd-amdhsa--gfx906
amdhsa.version:
  - 1
  - 2
...

	.end_amdgpu_metadata
